;; amdgpu-corpus repo=ROCm/AMDMIGraphX kind=compiled arch=gfx906 opt=O3
	.text
	.amdgcn_target "amdgcn-amd-amdhsa--gfx906"
	.amdhsa_code_object_version 6
	.protected	layernorm_f32           ; -- Begin function layernorm_f32
	.globl	layernorm_f32
	.p2align	8
	.type	layernorm_f32,@function
layernorm_f32:                          ; @layernorm_f32
; %bb.0:
	s_load_dword s0, s[4:5], 0x1c
	s_load_dwordx4 s[8:11], s[4:5], 0x0
	v_mov_b32_e32 v5, 0
	s_waitcnt lgkmcnt(0)
	s_and_b32 s0, s0, 0xffff
	s_mul_i32 s6, s6, s0
	v_add_u32_e32 v1, s6, v0
	v_bfe_u32 v2, v1, 8, 5
	v_lshrrev_b32_e32 v1, 13, v1
	v_mul_u32_u24_e32 v1, 0x6000, v1
	s_movk_i32 s0, 0x300
	v_mad_u32_u24 v1, v2, s0, v1
	v_mov_b32_e32 v2, 0
	v_lshlrev_b64 v[3:4], 2, v[1:2]
	v_mov_b32_e32 v1, s9
	v_add_co_u32_e32 v7, vcc, s8, v3
	v_addc_co_u32_e32 v8, vcc, v1, v4, vcc
	v_cmp_gt_u32_e32 vcc, s0, v0
	v_lshlrev_b32_e32 v1, 2, v0
	s_and_saveexec_b64 s[2:3], vcc
	s_cbranch_execz .LBB0_2
; %bb.1:
	v_add_co_u32_e64 v5, s[0:1], v7, v1
	v_addc_co_u32_e64 v6, s[0:1], 0, v8, s[0:1]
	global_load_dword v5, v[5:6], off
.LBB0_2:
	s_or_b64 exec, exec, s[2:3]
	s_movk_i32 s0, 0x200
	v_cmp_gt_u32_e64 s[0:1], s0, v0
	s_and_saveexec_b64 s[4:5], s[0:1]
	s_cbranch_execz .LBB0_4
; %bb.3:
	v_add_co_u32_e64 v9, s[2:3], v7, v1
	v_addc_co_u32_e64 v10, s[2:3], 0, v8, s[2:3]
	global_load_dword v2, v[9:10], off offset:1024
.LBB0_4:
	s_or_b64 exec, exec, s[4:5]
	s_movk_i32 s2, 0x100
	v_cmp_gt_u32_e64 s[2:3], s2, v0
	v_mov_b32_e32 v6, 0
	s_and_saveexec_b64 s[6:7], s[2:3]
	s_cbranch_execz .LBB0_6
; %bb.5:
	v_add_co_u32_e64 v6, s[4:5], v7, v1
	v_addc_co_u32_e64 v7, s[4:5], 0, v8, s[4:5]
	global_load_dword v6, v[6:7], off offset:2048
.LBB0_6:
	s_or_b64 exec, exec, s[6:7]
	s_mov_b32 s4, 0x3aaaaaab
	s_waitcnt vmcnt(0)
	v_fma_f32 v8, v5, s4, 0
	v_mul_f32_e32 v7, 0x3d13cd3a, v5
	v_cndmask_b32_e32 v8, 0, v8, vcc
	v_fma_f32 v7, v7, v7, 0
	v_mov_b32_e32 v10, v8
	v_cndmask_b32_e32 v7, 0, v7, vcc
	v_mul_f32_e32 v9, 0x3d13cd3a, v2
	v_fmac_f32_e32 v10, 0x3aaaaaab, v2
	v_fma_f32 v9, v9, v9, v7
	v_cndmask_b32_e64 v8, v8, v10, s[0:1]
	v_cndmask_b32_e64 v7, v7, v9, s[0:1]
	v_mul_f32_e32 v9, 0x3d13cd3a, v6
	v_mov_b32_e32 v10, v8
	v_fmac_f32_e32 v10, 0x3aaaaaab, v6
	v_fma_f32 v9, v9, v9, v7
	v_cndmask_b32_e64 v8, v8, v10, s[2:3]
	v_cndmask_b32_e64 v7, v7, v9, s[2:3]
	v_and_b32_e32 v11, 63, v0
	v_mov_b32_dpp v9, v8 row_shr:1 row_mask:0xf bank_mask:0xf
	v_mov_b32_dpp v10, v7 row_shr:1 row_mask:0xf bank_mask:0xf
	v_add_f32_e32 v8, v9, v8
	v_add_f32_e32 v7, v10, v7
	v_cmp_eq_u32_e64 s[4:5], 63, v11
	v_mov_b32_dpp v9, v8 row_shr:2 row_mask:0xf bank_mask:0xf
	v_mov_b32_dpp v10, v7 row_shr:2 row_mask:0xf bank_mask:0xf
	v_add_f32_e32 v8, v8, v9
	v_add_f32_e32 v7, v7, v10
	s_nop 0
	v_mov_b32_dpp v9, v8 row_shr:4 row_mask:0xf bank_mask:0xe
	v_mov_b32_dpp v10, v7 row_shr:4 row_mask:0xf bank_mask:0xe
	v_add_f32_e32 v8, v8, v9
	v_add_f32_e32 v7, v7, v10
	s_nop 0
	;; [unrolled: 5-line block ×3, first 2 shown]
	v_mov_b32_dpp v7, v8 row_bcast:15 row_mask:0xa bank_mask:0xf
	v_mov_b32_dpp v10, v9 row_bcast:15 row_mask:0xa bank_mask:0xf
	v_add_f32_e32 v7, v8, v7
	v_add_f32_e32 v9, v9, v10
	s_nop 0
	v_mov_b32_dpp v8, v7 row_bcast:31 row_mask:0xc bank_mask:0xf
	v_mov_b32_dpp v10, v9 row_bcast:31 row_mask:0xc bank_mask:0xf
	s_and_saveexec_b64 s[6:7], s[4:5]
	s_cbranch_execz .LBB0_8
; %bb.7:
	v_lshrrev_b32_e32 v0, 3, v0
	v_add_f32_e32 v9, v9, v10
	v_add_f32_e32 v8, v7, v8
	v_and_b32_e32 v0, 0x78, v0
	ds_write_b64 v0, v[8:9]
.LBB0_8:
	s_or_b64 exec, exec, s[6:7]
	v_mov_b32_e32 v0, 0
	s_waitcnt lgkmcnt(0)
	s_barrier
	ds_read_b128 v[7:10], v0
	ds_read_b128 v[11:14], v0 offset:16
	s_mov_b32 s4, 0x800000
	s_waitcnt lgkmcnt(1)
	v_add_f32_e32 v0, 0, v8
	v_add_f32_e32 v7, 0, v7
	;; [unrolled: 1-line block ×4, first 2 shown]
	s_waitcnt lgkmcnt(0)
	v_add_f32_e32 v8, v0, v12
	v_add_f32_e32 v0, v7, v11
	;; [unrolled: 1-line block ×4, first 2 shown]
	v_fma_f32 v7, -v0, v0, v7
	v_add_f32_e32 v7, 0x2b8cbccc, v7
	v_mul_f32_e32 v8, 0x4b800000, v7
	v_cmp_gt_f32_e64 s[4:5], s4, v7
	v_cndmask_b32_e64 v7, v7, v8, s[4:5]
	v_rsq_f32_e32 v7, v7
	v_mul_f32_e32 v8, 0x45800000, v7
	v_cndmask_b32_e64 v7, v7, v8, s[4:5]
	v_mov_b32_e32 v8, s11
	v_add_co_u32_e64 v3, s[4:5], s10, v3
	v_addc_co_u32_e64 v4, s[4:5], v8, v4, s[4:5]
	s_and_saveexec_b64 s[4:5], vcc
	s_cbranch_execnz .LBB0_12
; %bb.9:
	s_or_b64 exec, exec, s[4:5]
	s_and_saveexec_b64 s[4:5], s[0:1]
	s_cbranch_execnz .LBB0_13
.LBB0_10:
	s_or_b64 exec, exec, s[4:5]
	s_and_saveexec_b64 s[0:1], s[2:3]
	s_cbranch_execnz .LBB0_14
.LBB0_11:
	s_endpgm
.LBB0_12:
	v_add_co_u32_e32 v8, vcc, v3, v1
	v_sub_f32_e32 v5, v5, v0
	v_addc_co_u32_e32 v9, vcc, 0, v4, vcc
	v_mul_f32_e32 v5, v5, v7
	global_store_dword v[8:9], v5, off
	s_or_b64 exec, exec, s[4:5]
	s_and_saveexec_b64 s[4:5], s[0:1]
	s_cbranch_execz .LBB0_10
.LBB0_13:
	v_add_co_u32_e32 v8, vcc, v3, v1
	v_sub_f32_e32 v2, v2, v0
	v_addc_co_u32_e32 v9, vcc, 0, v4, vcc
	v_mul_f32_e32 v2, v2, v7
	global_store_dword v[8:9], v2, off offset:1024
	s_or_b64 exec, exec, s[4:5]
	s_and_saveexec_b64 s[0:1], s[2:3]
	s_cbranch_execz .LBB0_11
.LBB0_14:
	v_add_co_u32_e32 v1, vcc, v3, v1
	v_sub_f32_e32 v0, v6, v0
	v_addc_co_u32_e32 v2, vcc, 0, v4, vcc
	v_mul_f32_e32 v0, v0, v7
	global_store_dword v[1:2], v0, off offset:2048
	s_endpgm
	.section	.rodata,"a",@progbits
	.p2align	6, 0x0
	.amdhsa_kernel layernorm_f32
		.amdhsa_group_segment_fixed_size 32
		.amdhsa_private_segment_fixed_size 0
		.amdhsa_kernarg_size 272
		.amdhsa_user_sgpr_count 6
		.amdhsa_user_sgpr_private_segment_buffer 1
		.amdhsa_user_sgpr_dispatch_ptr 0
		.amdhsa_user_sgpr_queue_ptr 0
		.amdhsa_user_sgpr_kernarg_segment_ptr 1
		.amdhsa_user_sgpr_dispatch_id 0
		.amdhsa_user_sgpr_flat_scratch_init 0
		.amdhsa_user_sgpr_private_segment_size 0
		.amdhsa_uses_dynamic_stack 0
		.amdhsa_system_sgpr_private_segment_wavefront_offset 0
		.amdhsa_system_sgpr_workgroup_id_x 1
		.amdhsa_system_sgpr_workgroup_id_y 0
		.amdhsa_system_sgpr_workgroup_id_z 0
		.amdhsa_system_sgpr_workgroup_info 0
		.amdhsa_system_vgpr_workitem_id 0
		.amdhsa_next_free_vgpr 15
		.amdhsa_next_free_sgpr 12
		.amdhsa_reserve_vcc 1
		.amdhsa_reserve_flat_scratch 0
		.amdhsa_float_round_mode_32 0
		.amdhsa_float_round_mode_16_64 0
		.amdhsa_float_denorm_mode_32 3
		.amdhsa_float_denorm_mode_16_64 3
		.amdhsa_dx10_clamp 1
		.amdhsa_ieee_mode 1
		.amdhsa_fp16_overflow 0
		.amdhsa_exception_fp_ieee_invalid_op 0
		.amdhsa_exception_fp_denorm_src 0
		.amdhsa_exception_fp_ieee_div_zero 0
		.amdhsa_exception_fp_ieee_overflow 0
		.amdhsa_exception_fp_ieee_underflow 0
		.amdhsa_exception_fp_ieee_inexact 0
		.amdhsa_exception_int_div_zero 0
	.end_amdhsa_kernel
	.text
.Lfunc_end0:
	.size	layernorm_f32, .Lfunc_end0-layernorm_f32
                                        ; -- End function
	.section	.AMDGPU.csdata,"",@progbits
; Kernel info:
; codeLenInByte = 868
; NumSgprs: 16
; NumVgprs: 15
; ScratchSize: 0
; MemoryBound: 0
; FloatMode: 240
; IeeeMode: 1
; LDSByteSize: 32 bytes/workgroup (compile time only)
; SGPRBlocks: 1
; VGPRBlocks: 3
; NumSGPRsForWavesPerEU: 16
; NumVGPRsForWavesPerEU: 15
; Occupancy: 8
; WaveLimiterHint : 0
; COMPUTE_PGM_RSRC2:SCRATCH_EN: 0
; COMPUTE_PGM_RSRC2:USER_SGPR: 6
; COMPUTE_PGM_RSRC2:TRAP_HANDLER: 0
; COMPUTE_PGM_RSRC2:TGID_X_EN: 1
; COMPUTE_PGM_RSRC2:TGID_Y_EN: 0
; COMPUTE_PGM_RSRC2:TGID_Z_EN: 0
; COMPUTE_PGM_RSRC2:TIDIG_COMP_CNT: 0
	.text
	.protected	add_layernorm_f16       ; -- Begin function add_layernorm_f16
	.globl	add_layernorm_f16
	.p2align	8
	.type	add_layernorm_f16,@function
add_layernorm_f16:                      ; @add_layernorm_f16
; %bb.0:
	s_load_dword s7, s[4:5], 0x24
	s_load_dwordx4 s[0:3], s[4:5], 0x0
	v_mov_b32_e32 v5, 0
	s_waitcnt lgkmcnt(0)
	s_and_b32 s7, s7, 0xffff
	s_mul_i32 s6, s6, s7
	v_add_u32_e32 v1, s6, v0
	v_bfe_u32 v2, v1, 8, 5
	v_lshrrev_b32_e32 v1, 13, v1
	v_mul_u32_u24_e32 v1, 0x6000, v1
	s_movk_i32 s6, 0x300
	v_mad_u32_u24 v1, v2, s6, v1
	v_mov_b32_e32 v2, 0
	v_lshlrev_b64 v[3:4], 1, v[1:2]
	v_mov_b32_e32 v1, s1
	v_add_co_u32_e32 v7, vcc, s0, v3
	v_addc_co_u32_e32 v8, vcc, v1, v4, vcc
	v_mov_b32_e32 v1, s3
	v_add_co_u32_e32 v9, vcc, s2, v3
	v_addc_co_u32_e32 v10, vcc, v1, v4, vcc
	v_cmp_gt_u32_e32 vcc, s6, v0
	v_lshlrev_b32_e32 v1, 1, v0
	s_and_saveexec_b64 s[2:3], vcc
	s_cbranch_execz .LBB1_2
; %bb.1:
	v_add_co_u32_e64 v5, s[0:1], v7, v1
	v_addc_co_u32_e64 v6, s[0:1], 0, v8, s[0:1]
	v_add_co_u32_e64 v11, s[0:1], v9, v1
	v_addc_co_u32_e64 v12, s[0:1], 0, v10, s[0:1]
	global_load_ushort v13, v[5:6], off
	global_load_ushort v14, v[11:12], off
	s_waitcnt vmcnt(0)
	v_add_f16_e32 v5, v13, v14
	v_cvt_f32_f16_e32 v5, v5
.LBB1_2:
	s_or_b64 exec, exec, s[2:3]
	s_load_dwordx2 s[6:7], s[4:5], 0x10
	s_movk_i32 s0, 0x200
	v_cmp_gt_u32_e64 s[0:1], s0, v0
	s_and_saveexec_b64 s[4:5], s[0:1]
	s_cbranch_execz .LBB1_4
; %bb.3:
	v_add_co_u32_e64 v11, s[2:3], v7, v1
	v_addc_co_u32_e64 v12, s[2:3], 0, v8, s[2:3]
	v_add_co_u32_e64 v13, s[2:3], v9, v1
	v_addc_co_u32_e64 v14, s[2:3], 0, v10, s[2:3]
	global_load_ushort v2, v[11:12], off offset:512
	global_load_ushort v6, v[13:14], off offset:512
	s_waitcnt vmcnt(0)
	v_add_f16_e32 v2, v2, v6
	v_cvt_f32_f16_e32 v2, v2
.LBB1_4:
	s_or_b64 exec, exec, s[4:5]
	s_movk_i32 s2, 0x100
	v_cmp_gt_u32_e64 s[2:3], s2, v0
	v_mov_b32_e32 v6, 0
	s_and_saveexec_b64 s[8:9], s[2:3]
	s_cbranch_execz .LBB1_6
; %bb.5:
	v_add_co_u32_e64 v6, s[4:5], v7, v1
	v_addc_co_u32_e64 v7, s[4:5], 0, v8, s[4:5]
	v_add_co_u32_e64 v8, s[4:5], v9, v1
	v_addc_co_u32_e64 v9, s[4:5], 0, v10, s[4:5]
	global_load_ushort v10, v[6:7], off offset:1024
	global_load_ushort v11, v[8:9], off offset:1024
	s_waitcnt vmcnt(0)
	v_add_f16_e32 v6, v10, v11
	v_cvt_f32_f16_e32 v6, v6
.LBB1_6:
	s_or_b64 exec, exec, s[8:9]
	s_mov_b32 s4, 0x3aaaaaab
	v_fma_f32 v8, v5, s4, 0
	v_mul_f32_e32 v7, 0x3d13cd3a, v5
	v_cndmask_b32_e32 v8, 0, v8, vcc
	v_fma_f32 v7, v7, v7, 0
	v_mov_b32_e32 v10, v8
	v_cndmask_b32_e32 v7, 0, v7, vcc
	v_mul_f32_e32 v9, 0x3d13cd3a, v2
	v_fmac_f32_e32 v10, 0x3aaaaaab, v2
	v_fma_f32 v9, v9, v9, v7
	v_cndmask_b32_e64 v8, v8, v10, s[0:1]
	v_cndmask_b32_e64 v7, v7, v9, s[0:1]
	v_mul_f32_e32 v9, 0x3d13cd3a, v6
	v_mov_b32_e32 v10, v8
	v_fmac_f32_e32 v10, 0x3aaaaaab, v6
	v_fma_f32 v9, v9, v9, v7
	v_cndmask_b32_e64 v8, v8, v10, s[2:3]
	v_cndmask_b32_e64 v7, v7, v9, s[2:3]
	v_and_b32_e32 v11, 63, v0
	v_mov_b32_dpp v9, v8 row_shr:1 row_mask:0xf bank_mask:0xf
	v_mov_b32_dpp v10, v7 row_shr:1 row_mask:0xf bank_mask:0xf
	v_add_f32_e32 v8, v9, v8
	v_add_f32_e32 v7, v10, v7
	v_cmp_eq_u32_e64 s[4:5], 63, v11
	v_mov_b32_dpp v9, v8 row_shr:2 row_mask:0xf bank_mask:0xf
	v_mov_b32_dpp v10, v7 row_shr:2 row_mask:0xf bank_mask:0xf
	v_add_f32_e32 v8, v8, v9
	v_add_f32_e32 v7, v7, v10
	s_nop 0
	v_mov_b32_dpp v9, v8 row_shr:4 row_mask:0xf bank_mask:0xe
	v_mov_b32_dpp v10, v7 row_shr:4 row_mask:0xf bank_mask:0xe
	v_add_f32_e32 v8, v8, v9
	v_add_f32_e32 v7, v7, v10
	s_nop 0
	;; [unrolled: 5-line block ×3, first 2 shown]
	v_mov_b32_dpp v7, v8 row_bcast:15 row_mask:0xa bank_mask:0xf
	v_mov_b32_dpp v10, v9 row_bcast:15 row_mask:0xa bank_mask:0xf
	v_add_f32_e32 v7, v8, v7
	v_add_f32_e32 v9, v9, v10
	s_nop 0
	v_mov_b32_dpp v8, v7 row_bcast:31 row_mask:0xc bank_mask:0xf
	v_mov_b32_dpp v10, v9 row_bcast:31 row_mask:0xc bank_mask:0xf
	s_and_saveexec_b64 s[8:9], s[4:5]
	s_cbranch_execz .LBB1_8
; %bb.7:
	v_lshrrev_b32_e32 v0, 3, v0
	v_add_f32_e32 v9, v9, v10
	v_add_f32_e32 v8, v7, v8
	v_and_b32_e32 v0, 0x78, v0
	ds_write_b64 v0, v[8:9]
.LBB1_8:
	s_or_b64 exec, exec, s[8:9]
	v_mov_b32_e32 v0, 0
	s_waitcnt lgkmcnt(0)
	s_barrier
	ds_read_b128 v[7:10], v0
	ds_read_b128 v[11:14], v0 offset:16
	s_mov_b32 s4, 0x800000
	s_waitcnt lgkmcnt(1)
	v_add_f32_e32 v0, 0, v8
	v_add_f32_e32 v7, 0, v7
	;; [unrolled: 1-line block ×4, first 2 shown]
	s_waitcnt lgkmcnt(0)
	v_add_f32_e32 v8, v0, v12
	v_add_f32_e32 v0, v7, v11
	;; [unrolled: 1-line block ×4, first 2 shown]
	v_fma_f32 v7, -v0, v0, v7
	v_add_f32_e32 v7, 0x2b8cbccc, v7
	v_mul_f32_e32 v8, 0x4b800000, v7
	v_cmp_gt_f32_e64 s[4:5], s4, v7
	v_cndmask_b32_e64 v7, v7, v8, s[4:5]
	v_rsq_f32_e32 v7, v7
	v_mul_f32_e32 v8, 0x45800000, v7
	v_cndmask_b32_e64 v7, v7, v8, s[4:5]
	v_mov_b32_e32 v8, s7
	v_add_co_u32_e64 v3, s[4:5], s6, v3
	v_addc_co_u32_e64 v4, s[4:5], v8, v4, s[4:5]
	s_and_saveexec_b64 s[4:5], vcc
	s_cbranch_execnz .LBB1_12
; %bb.9:
	s_or_b64 exec, exec, s[4:5]
	s_and_saveexec_b64 s[4:5], s[0:1]
	s_cbranch_execnz .LBB1_13
.LBB1_10:
	s_or_b64 exec, exec, s[4:5]
	s_and_saveexec_b64 s[0:1], s[2:3]
	s_cbranch_execnz .LBB1_14
.LBB1_11:
	s_endpgm
.LBB1_12:
	v_add_co_u32_e32 v8, vcc, v3, v1
	v_sub_f32_e32 v5, v5, v0
	v_addc_co_u32_e32 v9, vcc, 0, v4, vcc
	v_fma_mixlo_f16 v5, v5, v7, 0
	global_store_short v[8:9], v5, off
	s_or_b64 exec, exec, s[4:5]
	s_and_saveexec_b64 s[4:5], s[0:1]
	s_cbranch_execz .LBB1_10
.LBB1_13:
	v_add_co_u32_e32 v8, vcc, v3, v1
	v_sub_f32_e32 v2, v2, v0
	v_addc_co_u32_e32 v9, vcc, 0, v4, vcc
	v_fma_mixlo_f16 v2, v2, v7, 0
	global_store_short v[8:9], v2, off offset:512
	s_or_b64 exec, exec, s[4:5]
	s_and_saveexec_b64 s[0:1], s[2:3]
	s_cbranch_execz .LBB1_11
.LBB1_14:
	v_add_co_u32_e32 v1, vcc, v3, v1
	v_sub_f32_e32 v0, v6, v0
	v_addc_co_u32_e32 v2, vcc, 0, v4, vcc
	v_fma_mixlo_f16 v0, v0, v7, 0
	global_store_short v[1:2], v0, off offset:1024
	s_endpgm
	.section	.rodata,"a",@progbits
	.p2align	6, 0x0
	.amdhsa_kernel add_layernorm_f16
		.amdhsa_group_segment_fixed_size 32
		.amdhsa_private_segment_fixed_size 0
		.amdhsa_kernarg_size 280
		.amdhsa_user_sgpr_count 6
		.amdhsa_user_sgpr_private_segment_buffer 1
		.amdhsa_user_sgpr_dispatch_ptr 0
		.amdhsa_user_sgpr_queue_ptr 0
		.amdhsa_user_sgpr_kernarg_segment_ptr 1
		.amdhsa_user_sgpr_dispatch_id 0
		.amdhsa_user_sgpr_flat_scratch_init 0
		.amdhsa_user_sgpr_private_segment_size 0
		.amdhsa_uses_dynamic_stack 0
		.amdhsa_system_sgpr_private_segment_wavefront_offset 0
		.amdhsa_system_sgpr_workgroup_id_x 1
		.amdhsa_system_sgpr_workgroup_id_y 0
		.amdhsa_system_sgpr_workgroup_id_z 0
		.amdhsa_system_sgpr_workgroup_info 0
		.amdhsa_system_vgpr_workitem_id 0
		.amdhsa_next_free_vgpr 15
		.amdhsa_next_free_sgpr 10
		.amdhsa_reserve_vcc 1
		.amdhsa_reserve_flat_scratch 0
		.amdhsa_float_round_mode_32 0
		.amdhsa_float_round_mode_16_64 0
		.amdhsa_float_denorm_mode_32 3
		.amdhsa_float_denorm_mode_16_64 3
		.amdhsa_dx10_clamp 1
		.amdhsa_ieee_mode 1
		.amdhsa_fp16_overflow 0
		.amdhsa_exception_fp_ieee_invalid_op 0
		.amdhsa_exception_fp_denorm_src 0
		.amdhsa_exception_fp_ieee_div_zero 0
		.amdhsa_exception_fp_ieee_overflow 0
		.amdhsa_exception_fp_ieee_underflow 0
		.amdhsa_exception_fp_ieee_inexact 0
		.amdhsa_exception_int_div_zero 0
	.end_amdhsa_kernel
	.text
.Lfunc_end1:
	.size	add_layernorm_f16, .Lfunc_end1-add_layernorm_f16
                                        ; -- End function
	.section	.AMDGPU.csdata,"",@progbits
; Kernel info:
; codeLenInByte = 1004
; NumSgprs: 14
; NumVgprs: 15
; ScratchSize: 0
; MemoryBound: 0
; FloatMode: 240
; IeeeMode: 1
; LDSByteSize: 32 bytes/workgroup (compile time only)
; SGPRBlocks: 1
; VGPRBlocks: 3
; NumSGPRsForWavesPerEU: 14
; NumVGPRsForWavesPerEU: 15
; Occupancy: 8
; WaveLimiterHint : 0
; COMPUTE_PGM_RSRC2:SCRATCH_EN: 0
; COMPUTE_PGM_RSRC2:USER_SGPR: 6
; COMPUTE_PGM_RSRC2:TRAP_HANDLER: 0
; COMPUTE_PGM_RSRC2:TGID_X_EN: 1
; COMPUTE_PGM_RSRC2:TGID_Y_EN: 0
; COMPUTE_PGM_RSRC2:TGID_Z_EN: 0
; COMPUTE_PGM_RSRC2:TIDIG_COMP_CNT: 0
	.type	__hip_cuid_904bcae172862fbe,@object ; @__hip_cuid_904bcae172862fbe
	.section	.bss,"aw",@nobits
	.globl	__hip_cuid_904bcae172862fbe
__hip_cuid_904bcae172862fbe:
	.byte	0                               ; 0x0
	.size	__hip_cuid_904bcae172862fbe, 1

	.ident	"AMD clang version 19.0.0git (https://github.com/RadeonOpenCompute/llvm-project roc-6.4.0 25133 c7fe45cf4b819c5991fe208aaa96edf142730f1d)"
	.section	".note.GNU-stack","",@progbits
	.addrsig
	.addrsig_sym __hip_cuid_904bcae172862fbe
	.amdgpu_metadata
---
amdhsa.kernels:
  - .args:
      - .address_space:  global
        .offset:         0
        .size:           8
        .value_kind:     global_buffer
      - .address_space:  global
        .offset:         8
        .size:           8
        .value_kind:     global_buffer
      - .offset:         16
        .size:           4
        .value_kind:     hidden_block_count_x
      - .offset:         20
        .size:           4
        .value_kind:     hidden_block_count_y
      - .offset:         24
        .size:           4
        .value_kind:     hidden_block_count_z
      - .offset:         28
        .size:           2
        .value_kind:     hidden_group_size_x
      - .offset:         30
        .size:           2
        .value_kind:     hidden_group_size_y
      - .offset:         32
        .size:           2
        .value_kind:     hidden_group_size_z
      - .offset:         34
        .size:           2
        .value_kind:     hidden_remainder_x
      - .offset:         36
        .size:           2
        .value_kind:     hidden_remainder_y
      - .offset:         38
        .size:           2
        .value_kind:     hidden_remainder_z
      - .offset:         56
        .size:           8
        .value_kind:     hidden_global_offset_x
      - .offset:         64
        .size:           8
        .value_kind:     hidden_global_offset_y
      - .offset:         72
        .size:           8
        .value_kind:     hidden_global_offset_z
      - .offset:         80
        .size:           2
        .value_kind:     hidden_grid_dims
    .group_segment_fixed_size: 32
    .kernarg_segment_align: 8
    .kernarg_segment_size: 272
    .language:       OpenCL C
    .language_version:
      - 2
      - 0
    .max_flat_workgroup_size: 1024
    .name:           layernorm_f32
    .private_segment_fixed_size: 0
    .sgpr_count:     16
    .sgpr_spill_count: 0
    .symbol:         layernorm_f32.kd
    .uniform_work_group_size: 1
    .uses_dynamic_stack: false
    .vgpr_count:     15
    .vgpr_spill_count: 0
    .wavefront_size: 64
  - .args:
      - .address_space:  global
        .offset:         0
        .size:           8
        .value_kind:     global_buffer
      - .address_space:  global
        .offset:         8
        .size:           8
        .value_kind:     global_buffer
      - .address_space:  global
        .offset:         16
        .size:           8
        .value_kind:     global_buffer
      - .offset:         24
        .size:           4
        .value_kind:     hidden_block_count_x
      - .offset:         28
        .size:           4
        .value_kind:     hidden_block_count_y
      - .offset:         32
        .size:           4
        .value_kind:     hidden_block_count_z
      - .offset:         36
        .size:           2
        .value_kind:     hidden_group_size_x
      - .offset:         38
        .size:           2
        .value_kind:     hidden_group_size_y
      - .offset:         40
        .size:           2
        .value_kind:     hidden_group_size_z
      - .offset:         42
        .size:           2
        .value_kind:     hidden_remainder_x
      - .offset:         44
        .size:           2
        .value_kind:     hidden_remainder_y
      - .offset:         46
        .size:           2
        .value_kind:     hidden_remainder_z
      - .offset:         64
        .size:           8
        .value_kind:     hidden_global_offset_x
      - .offset:         72
        .size:           8
        .value_kind:     hidden_global_offset_y
      - .offset:         80
        .size:           8
        .value_kind:     hidden_global_offset_z
      - .offset:         88
        .size:           2
        .value_kind:     hidden_grid_dims
    .group_segment_fixed_size: 32
    .kernarg_segment_align: 8
    .kernarg_segment_size: 280
    .language:       OpenCL C
    .language_version:
      - 2
      - 0
    .max_flat_workgroup_size: 1024
    .name:           add_layernorm_f16
    .private_segment_fixed_size: 0
    .sgpr_count:     14
    .sgpr_spill_count: 0
    .symbol:         add_layernorm_f16.kd
    .uniform_work_group_size: 1
    .uses_dynamic_stack: false
    .vgpr_count:     15
    .vgpr_spill_count: 0
    .wavefront_size: 64
amdhsa.target:   amdgcn-amd-amdhsa--gfx906
amdhsa.version:
  - 1
  - 2
...

	.end_amdgpu_metadata
